;; amdgpu-corpus repo=ROCm/rocFFT kind=compiled arch=gfx1030 opt=O3
	.text
	.amdgcn_target "amdgcn-amd-amdhsa--gfx1030"
	.amdhsa_code_object_version 6
	.protected	fft_rtc_fwd_len1750_factors_2_5_5_7_5_wgs_175_tpt_175_halfLds_dp_ip_CI_unitstride_sbrr_R2C_dirReg ; -- Begin function fft_rtc_fwd_len1750_factors_2_5_5_7_5_wgs_175_tpt_175_halfLds_dp_ip_CI_unitstride_sbrr_R2C_dirReg
	.globl	fft_rtc_fwd_len1750_factors_2_5_5_7_5_wgs_175_tpt_175_halfLds_dp_ip_CI_unitstride_sbrr_R2C_dirReg
	.p2align	8
	.type	fft_rtc_fwd_len1750_factors_2_5_5_7_5_wgs_175_tpt_175_halfLds_dp_ip_CI_unitstride_sbrr_R2C_dirReg,@function
fft_rtc_fwd_len1750_factors_2_5_5_7_5_wgs_175_tpt_175_halfLds_dp_ip_CI_unitstride_sbrr_R2C_dirReg: ; @fft_rtc_fwd_len1750_factors_2_5_5_7_5_wgs_175_tpt_175_halfLds_dp_ip_CI_unitstride_sbrr_R2C_dirReg
; %bb.0:
	s_clause 0x2
	s_load_dwordx4 s[8:11], s[4:5], 0x0
	s_load_dwordx2 s[2:3], s[4:5], 0x50
	s_load_dwordx2 s[12:13], s[4:5], 0x18
	v_mul_u32_u24_e32 v1, 0x177, v0
	v_mov_b32_e32 v3, 0
	v_add_nc_u32_sdwa v5, s6, v1 dst_sel:DWORD dst_unused:UNUSED_PAD src0_sel:DWORD src1_sel:WORD_1
	v_mov_b32_e32 v1, 0
	v_mov_b32_e32 v6, v3
	v_mov_b32_e32 v2, 0
	s_waitcnt lgkmcnt(0)
	v_cmp_lt_u64_e64 s0, s[10:11], 2
	s_and_b32 vcc_lo, exec_lo, s0
	s_cbranch_vccnz .LBB0_8
; %bb.1:
	s_load_dwordx2 s[0:1], s[4:5], 0x10
	v_mov_b32_e32 v1, 0
	s_add_u32 s6, s12, 8
	v_mov_b32_e32 v2, 0
	s_addc_u32 s7, s13, 0
	s_mov_b64 s[16:17], 1
	s_waitcnt lgkmcnt(0)
	s_add_u32 s14, s0, 8
	s_addc_u32 s15, s1, 0
.LBB0_2:                                ; =>This Inner Loop Header: Depth=1
	s_load_dwordx2 s[18:19], s[14:15], 0x0
                                        ; implicit-def: $vgpr7_vgpr8
	s_mov_b32 s0, exec_lo
	s_waitcnt lgkmcnt(0)
	v_or_b32_e32 v4, s19, v6
	v_cmpx_ne_u64_e32 0, v[3:4]
	s_xor_b32 s1, exec_lo, s0
	s_cbranch_execz .LBB0_4
; %bb.3:                                ;   in Loop: Header=BB0_2 Depth=1
	v_cvt_f32_u32_e32 v4, s18
	v_cvt_f32_u32_e32 v7, s19
	s_sub_u32 s0, 0, s18
	s_subb_u32 s20, 0, s19
	v_fmac_f32_e32 v4, 0x4f800000, v7
	v_rcp_f32_e32 v4, v4
	v_mul_f32_e32 v4, 0x5f7ffffc, v4
	v_mul_f32_e32 v7, 0x2f800000, v4
	v_trunc_f32_e32 v7, v7
	v_fmac_f32_e32 v4, 0xcf800000, v7
	v_cvt_u32_f32_e32 v7, v7
	v_cvt_u32_f32_e32 v4, v4
	v_mul_lo_u32 v8, s0, v7
	v_mul_hi_u32 v9, s0, v4
	v_mul_lo_u32 v10, s20, v4
	v_add_nc_u32_e32 v8, v9, v8
	v_mul_lo_u32 v9, s0, v4
	v_add_nc_u32_e32 v8, v8, v10
	v_mul_hi_u32 v10, v4, v9
	v_mul_lo_u32 v11, v4, v8
	v_mul_hi_u32 v12, v4, v8
	v_mul_hi_u32 v13, v7, v9
	v_mul_lo_u32 v9, v7, v9
	v_mul_hi_u32 v14, v7, v8
	v_mul_lo_u32 v8, v7, v8
	v_add_co_u32 v10, vcc_lo, v10, v11
	v_add_co_ci_u32_e32 v11, vcc_lo, 0, v12, vcc_lo
	v_add_co_u32 v9, vcc_lo, v10, v9
	v_add_co_ci_u32_e32 v9, vcc_lo, v11, v13, vcc_lo
	v_add_co_ci_u32_e32 v10, vcc_lo, 0, v14, vcc_lo
	v_add_co_u32 v8, vcc_lo, v9, v8
	v_add_co_ci_u32_e32 v9, vcc_lo, 0, v10, vcc_lo
	v_add_co_u32 v4, vcc_lo, v4, v8
	v_add_co_ci_u32_e32 v7, vcc_lo, v7, v9, vcc_lo
	v_mul_hi_u32 v8, s0, v4
	v_mul_lo_u32 v10, s20, v4
	v_mul_lo_u32 v9, s0, v7
	v_add_nc_u32_e32 v8, v8, v9
	v_mul_lo_u32 v9, s0, v4
	v_add_nc_u32_e32 v8, v8, v10
	v_mul_hi_u32 v10, v4, v9
	v_mul_lo_u32 v11, v4, v8
	v_mul_hi_u32 v12, v4, v8
	v_mul_hi_u32 v13, v7, v9
	v_mul_lo_u32 v9, v7, v9
	v_mul_hi_u32 v14, v7, v8
	v_mul_lo_u32 v8, v7, v8
	v_add_co_u32 v10, vcc_lo, v10, v11
	v_add_co_ci_u32_e32 v11, vcc_lo, 0, v12, vcc_lo
	v_add_co_u32 v9, vcc_lo, v10, v9
	v_add_co_ci_u32_e32 v9, vcc_lo, v11, v13, vcc_lo
	v_add_co_ci_u32_e32 v10, vcc_lo, 0, v14, vcc_lo
	v_add_co_u32 v8, vcc_lo, v9, v8
	v_add_co_ci_u32_e32 v9, vcc_lo, 0, v10, vcc_lo
	v_add_co_u32 v4, vcc_lo, v4, v8
	v_add_co_ci_u32_e32 v11, vcc_lo, v7, v9, vcc_lo
	v_mul_hi_u32 v13, v5, v4
	v_mad_u64_u32 v[9:10], null, v6, v4, 0
	v_mad_u64_u32 v[7:8], null, v5, v11, 0
	;; [unrolled: 1-line block ×3, first 2 shown]
	v_add_co_u32 v4, vcc_lo, v13, v7
	v_add_co_ci_u32_e32 v7, vcc_lo, 0, v8, vcc_lo
	v_add_co_u32 v4, vcc_lo, v4, v9
	v_add_co_ci_u32_e32 v4, vcc_lo, v7, v10, vcc_lo
	v_add_co_ci_u32_e32 v7, vcc_lo, 0, v12, vcc_lo
	v_add_co_u32 v4, vcc_lo, v4, v11
	v_add_co_ci_u32_e32 v9, vcc_lo, 0, v7, vcc_lo
	v_mul_lo_u32 v10, s19, v4
	v_mad_u64_u32 v[7:8], null, s18, v4, 0
	v_mul_lo_u32 v11, s18, v9
	v_sub_co_u32 v7, vcc_lo, v5, v7
	v_add3_u32 v8, v8, v11, v10
	v_sub_nc_u32_e32 v10, v6, v8
	v_subrev_co_ci_u32_e64 v10, s0, s19, v10, vcc_lo
	v_add_co_u32 v11, s0, v4, 2
	v_add_co_ci_u32_e64 v12, s0, 0, v9, s0
	v_sub_co_u32 v13, s0, v7, s18
	v_sub_co_ci_u32_e32 v8, vcc_lo, v6, v8, vcc_lo
	v_subrev_co_ci_u32_e64 v10, s0, 0, v10, s0
	v_cmp_le_u32_e32 vcc_lo, s18, v13
	v_cmp_eq_u32_e64 s0, s19, v8
	v_cndmask_b32_e64 v13, 0, -1, vcc_lo
	v_cmp_le_u32_e32 vcc_lo, s19, v10
	v_cndmask_b32_e64 v14, 0, -1, vcc_lo
	v_cmp_le_u32_e32 vcc_lo, s18, v7
	;; [unrolled: 2-line block ×3, first 2 shown]
	v_cndmask_b32_e64 v15, 0, -1, vcc_lo
	v_cmp_eq_u32_e32 vcc_lo, s19, v10
	v_cndmask_b32_e64 v7, v15, v7, s0
	v_cndmask_b32_e32 v10, v14, v13, vcc_lo
	v_add_co_u32 v13, vcc_lo, v4, 1
	v_add_co_ci_u32_e32 v14, vcc_lo, 0, v9, vcc_lo
	v_cmp_ne_u32_e32 vcc_lo, 0, v10
	v_cndmask_b32_e32 v8, v14, v12, vcc_lo
	v_cndmask_b32_e32 v10, v13, v11, vcc_lo
	v_cmp_ne_u32_e32 vcc_lo, 0, v7
	v_cndmask_b32_e32 v8, v9, v8, vcc_lo
	v_cndmask_b32_e32 v7, v4, v10, vcc_lo
.LBB0_4:                                ;   in Loop: Header=BB0_2 Depth=1
	s_andn2_saveexec_b32 s0, s1
	s_cbranch_execz .LBB0_6
; %bb.5:                                ;   in Loop: Header=BB0_2 Depth=1
	v_cvt_f32_u32_e32 v4, s18
	s_sub_i32 s1, 0, s18
	v_rcp_iflag_f32_e32 v4, v4
	v_mul_f32_e32 v4, 0x4f7ffffe, v4
	v_cvt_u32_f32_e32 v4, v4
	v_mul_lo_u32 v7, s1, v4
	v_mul_hi_u32 v7, v4, v7
	v_add_nc_u32_e32 v4, v4, v7
	v_mul_hi_u32 v4, v5, v4
	v_mul_lo_u32 v7, v4, s18
	v_add_nc_u32_e32 v8, 1, v4
	v_sub_nc_u32_e32 v7, v5, v7
	v_subrev_nc_u32_e32 v9, s18, v7
	v_cmp_le_u32_e32 vcc_lo, s18, v7
	v_cndmask_b32_e32 v7, v7, v9, vcc_lo
	v_cndmask_b32_e32 v4, v4, v8, vcc_lo
	v_cmp_le_u32_e32 vcc_lo, s18, v7
	v_add_nc_u32_e32 v8, 1, v4
	v_cndmask_b32_e32 v7, v4, v8, vcc_lo
	v_mov_b32_e32 v8, v3
.LBB0_6:                                ;   in Loop: Header=BB0_2 Depth=1
	s_or_b32 exec_lo, exec_lo, s0
	s_load_dwordx2 s[0:1], s[6:7], 0x0
	v_mul_lo_u32 v4, v8, s18
	v_mul_lo_u32 v11, v7, s19
	v_mad_u64_u32 v[9:10], null, v7, s18, 0
	s_add_u32 s16, s16, 1
	s_addc_u32 s17, s17, 0
	s_add_u32 s6, s6, 8
	s_addc_u32 s7, s7, 0
	;; [unrolled: 2-line block ×3, first 2 shown]
	v_add3_u32 v4, v10, v11, v4
	v_sub_co_u32 v5, vcc_lo, v5, v9
	v_sub_co_ci_u32_e32 v4, vcc_lo, v6, v4, vcc_lo
	s_waitcnt lgkmcnt(0)
	v_mul_lo_u32 v6, s1, v5
	v_mul_lo_u32 v4, s0, v4
	v_mad_u64_u32 v[1:2], null, s0, v5, v[1:2]
	v_cmp_ge_u64_e64 s0, s[16:17], s[10:11]
	s_and_b32 vcc_lo, exec_lo, s0
	v_add3_u32 v2, v6, v2, v4
	s_cbranch_vccnz .LBB0_9
; %bb.7:                                ;   in Loop: Header=BB0_2 Depth=1
	v_mov_b32_e32 v5, v7
	v_mov_b32_e32 v6, v8
	s_branch .LBB0_2
.LBB0_8:
	v_mov_b32_e32 v8, v6
	v_mov_b32_e32 v7, v5
.LBB0_9:
	s_lshl_b64 s[0:1], s[10:11], 3
	v_mul_hi_u32 v3, 0x1767dcf, v0
	s_add_u32 s0, s12, s0
	s_addc_u32 s1, s13, s1
	s_load_dwordx2 s[4:5], s[4:5], 0x20
	s_load_dwordx2 s[0:1], s[0:1], 0x0
	v_mul_u32_u24_e32 v3, 0xaf, v3
	v_sub_nc_u32_e32 v56, v0, v3
	v_add_nc_u32_e32 v58, 0xaf, v56
	v_add_nc_u32_e32 v63, 0x15e, v56
	;; [unrolled: 1-line block ×3, first 2 shown]
	s_waitcnt lgkmcnt(0)
	v_cmp_gt_u64_e32 vcc_lo, s[4:5], v[7:8]
	v_mul_lo_u32 v3, s0, v8
	v_mul_lo_u32 v4, s1, v7
	v_mad_u64_u32 v[0:1], null, s0, v7, v[1:2]
	v_cmp_le_u64_e64 s0, s[4:5], v[7:8]
	v_add3_u32 v1, v4, v1, v3
	s_and_saveexec_b32 s1, s0
	s_xor_b32 s0, exec_lo, s1
; %bb.10:
	v_add_nc_u32_e32 v58, 0xaf, v56
	v_add_nc_u32_e32 v63, 0x15e, v56
	;; [unrolled: 1-line block ×3, first 2 shown]
; %bb.11:
	s_or_saveexec_b32 s1, s0
	v_lshlrev_b64 v[60:61], 4, v[0:1]
	s_xor_b32 exec_lo, exec_lo, s1
	s_cbranch_execz .LBB0_13
; %bb.12:
	v_mov_b32_e32 v57, 0
	v_add_co_u32 v2, s0, s2, v60
	v_add_co_ci_u32_e64 v3, s0, s3, v61, s0
	v_lshlrev_b64 v[0:1], 4, v[56:57]
	v_lshl_add_u32 v40, v56, 4, 0
	v_add_co_u32 v16, s0, v2, v0
	v_add_co_ci_u32_e64 v17, s0, v3, v1, s0
	v_add_co_u32 v4, s0, 0x800, v16
	v_add_co_ci_u32_e64 v5, s0, 0, v17, s0
	v_add_co_u32 v8, s0, 0x1000, v16
	v_add_co_ci_u32_e64 v9, s0, 0, v17, s0
	v_add_co_u32 v12, s0, 0x2000, v16
	v_add_co_ci_u32_e64 v13, s0, 0, v17, s0
	v_add_co_u32 v18, s0, 0x2800, v16
	v_add_co_ci_u32_e64 v19, s0, 0, v17, s0
	v_add_co_u32 v20, s0, 0x3000, v16
	v_add_co_ci_u32_e64 v21, s0, 0, v17, s0
	v_add_co_u32 v24, s0, 0x4000, v16
	v_add_co_ci_u32_e64 v25, s0, 0, v17, s0
	v_add_co_u32 v28, s0, 0x4800, v16
	v_add_co_ci_u32_e64 v29, s0, 0, v17, s0
	v_add_co_u32 v32, s0, 0x5000, v16
	v_add_co_ci_u32_e64 v33, s0, 0, v17, s0
	v_add_co_u32 v36, s0, 0x6000, v16
	v_add_co_ci_u32_e64 v37, s0, 0, v17, s0
	s_clause 0x9
	global_load_dwordx4 v[0:3], v[16:17], off
	global_load_dwordx4 v[4:7], v[4:5], off offset:752
	global_load_dwordx4 v[8:11], v[8:9], off offset:1504
	;; [unrolled: 1-line block ×9, first 2 shown]
	s_waitcnt vmcnt(9)
	ds_write_b128 v40, v[0:3]
	s_waitcnt vmcnt(8)
	ds_write_b128 v40, v[4:7] offset:2800
	s_waitcnt vmcnt(7)
	ds_write_b128 v40, v[8:11] offset:5600
	;; [unrolled: 2-line block ×9, first 2 shown]
.LBB0_13:
	s_or_b32 exec_lo, exec_lo, s1
	v_lshlrev_b32_e32 v57, 4, v56
	s_waitcnt lgkmcnt(0)
	s_barrier
	buffer_gl0_inv
	v_lshl_add_u32 v59, v63, 5, 0
	v_add_nc_u32_e32 v65, 0, v57
	v_lshl_add_u32 v64, v62, 5, 0
	v_lshlrev_b32_e32 v67, 4, v63
	v_lshlrev_b32_e32 v68, 4, v62
	s_mov_b32 s10, 0x134454ff
	ds_read_b128 v[0:3], v65 offset:14000
	ds_read_b128 v[4:7], v65
	ds_read_b128 v[8:11], v65 offset:2800
	ds_read_b128 v[12:15], v65 offset:16800
	;; [unrolled: 1-line block ×8, first 2 shown]
	s_waitcnt lgkmcnt(0)
	s_barrier
	buffer_gl0_inv
	s_mov_b32 s11, 0x3fee6f0e
	s_mov_b32 s13, 0xbfee6f0e
	s_mov_b32 s12, s10
	s_mov_b32 s4, 0x4755a5e
	s_mov_b32 s5, 0x3fe2cf23
	s_mov_b32 s7, 0xbfe2cf23
	s_mov_b32 s6, s4
	s_mov_b32 s0, 0x372fe950
	v_add_f64 v[40:41], v[4:5], -v[0:1]
	v_add_f64 v[42:43], v[6:7], -v[2:3]
	;; [unrolled: 1-line block ×10, first 2 shown]
	v_and_b32_e32 v0, 1, v56
	v_lshl_add_u32 v12, v58, 5, 0
	s_mov_b32 s1, 0x3fd3c6ef
	v_fma_f64 v[1:2], v[4:5], 2.0, -v[40:41]
	v_fma_f64 v[3:4], v[6:7], 2.0, -v[42:43]
	;; [unrolled: 1-line block ×10, first 2 shown]
	v_add_nc_u32_e32 v9, v65, v57
	v_lshlrev_b32_e32 v10, 6, v0
	v_lshrrev_b32_e32 v11, 1, v56
	ds_write_b128 v9, v[40:43] offset:16
	ds_write_b128 v12, v[44:47] offset:16
	;; [unrolled: 1-line block ×5, first 2 shown]
	ds_write_b128 v9, v[1:4]
	ds_write_b128 v12, v[5:8]
	;; [unrolled: 1-line block ×3, first 2 shown]
	ds_write_b128 v9, v[21:24] offset:16800
	ds_write_b128 v64, v[32:35]
	s_waitcnt lgkmcnt(0)
	s_barrier
	buffer_gl0_inv
	s_clause 0x2
	global_load_dwordx4 v[5:8], v10, s[8:9]
	global_load_dwordx4 v[14:17], v10, s[8:9] offset:16
	global_load_dwordx4 v[18:21], v10, s[8:9] offset:32
	v_and_b32_e32 v4, 1, v58
	v_sub_nc_u32_e32 v3, v64, v68
	v_lshlrev_b32_e32 v13, 4, v58
	v_mul_u32_u24_e32 v11, 10, v11
	v_lshlrev_b32_e32 v1, 6, v4
	s_clause 0x4
	global_load_dwordx4 v[22:25], v10, s[8:9] offset:48
	global_load_dwordx4 v[26:29], v1, s[8:9]
	global_load_dwordx4 v[30:33], v1, s[8:9] offset:16
	global_load_dwordx4 v[34:37], v1, s[8:9] offset:32
	;; [unrolled: 1-line block ×3, first 2 shown]
	v_sub_nc_u32_e32 v1, v59, v67
	ds_read_b128 v[46:49], v3
	ds_read_b128 v[50:53], v65 offset:16800
	v_sub_nc_u32_e32 v2, v12, v13
	v_or_b32_e32 v0, v11, v0
	ds_read_b128 v[42:45], v1
	ds_read_b128 v[69:72], v65 offset:25200
	ds_read_b128 v[73:76], v65 offset:22400
	v_sub_nc_u32_e32 v13, 0, v13
	v_lshl_add_u32 v0, v0, 4, 0
	s_waitcnt vmcnt(7) lgkmcnt(2)
	v_mul_f64 v[54:55], v[44:45], v[7:8]
	v_mul_f64 v[93:94], v[42:43], v[7:8]
	s_waitcnt vmcnt(6)
	v_mul_f64 v[95:96], v[48:49], v[16:17]
	v_mul_f64 v[16:17], v[46:47], v[16:17]
	ds_read_b128 v[7:10], v2
	ds_read_b128 v[77:80], v65 offset:14000
	ds_read_b128 v[81:84], v65 offset:8400
	;; [unrolled: 1-line block ×3, first 2 shown]
	ds_read_b128 v[89:92], v65
	s_waitcnt vmcnt(5)
	v_mul_f64 v[97:98], v[52:53], v[20:21]
	v_mul_f64 v[20:21], v[50:51], v[20:21]
	s_waitcnt vmcnt(4) lgkmcnt(5)
	v_mul_f64 v[99:100], v[75:76], v[24:25]
	v_mul_f64 v[24:25], v[73:74], v[24:25]
	s_waitcnt vmcnt(0) lgkmcnt(0)
	s_barrier
	buffer_gl0_inv
	v_fma_f64 v[42:43], v[42:43], v[5:6], -v[54:55]
	v_fma_f64 v[5:6], v[44:45], v[5:6], v[93:94]
	v_mul_f64 v[44:45], v[83:84], v[28:29]
	v_mul_f64 v[28:29], v[81:82], v[28:29]
	;; [unrolled: 1-line block ×3, first 2 shown]
	v_fma_f64 v[46:47], v[46:47], v[14:15], -v[95:96]
	v_fma_f64 v[14:15], v[48:49], v[14:15], v[16:17]
	v_mul_f64 v[16:17], v[77:78], v[32:33]
	v_mul_f64 v[32:33], v[87:88], v[36:37]
	;; [unrolled: 1-line block ×4, first 2 shown]
	v_fma_f64 v[50:51], v[50:51], v[18:19], -v[97:98]
	v_fma_f64 v[18:19], v[52:53], v[18:19], v[20:21]
	v_mul_f64 v[20:21], v[69:70], v[40:41]
	v_fma_f64 v[40:41], v[73:74], v[22:23], -v[99:100]
	v_fma_f64 v[22:23], v[75:76], v[22:23], v[24:25]
	v_fma_f64 v[24:25], v[81:82], v[26:27], -v[44:45]
	v_fma_f64 v[26:27], v[83:84], v[26:27], v[28:29]
	v_fma_f64 v[28:29], v[77:78], v[30:31], -v[54:55]
	v_add_f64 v[81:82], v[89:90], v[42:43]
	v_add_f64 v[83:84], v[91:92], v[5:6]
	v_fma_f64 v[16:17], v[79:80], v[30:31], v[16:17]
	v_fma_f64 v[30:31], v[85:86], v[34:35], -v[32:33]
	v_fma_f64 v[32:33], v[87:88], v[34:35], v[36:37]
	v_fma_f64 v[34:35], v[69:70], v[38:39], -v[48:49]
	v_add_f64 v[36:37], v[42:43], -v[46:47]
	v_add_f64 v[44:45], v[14:15], v[18:19]
	v_fma_f64 v[20:21], v[71:72], v[38:39], v[20:21]
	v_add_f64 v[38:39], v[46:47], v[50:51]
	v_add_f64 v[48:49], v[42:43], v[40:41]
	v_add_f64 v[54:55], v[40:41], -v[50:51]
	v_add_f64 v[52:53], v[5:6], v[22:23]
	v_add_f64 v[85:86], v[46:47], -v[42:43]
	v_add_f64 v[87:88], v[14:15], -v[5:6]
	;; [unrolled: 1-line block ×6, first 2 shown]
	v_add_f64 v[105:106], v[7:8], v[24:25]
	v_add_f64 v[42:43], v[42:43], -v[40:41]
	v_add_f64 v[107:108], v[14:15], -v[18:19]
	v_add_f64 v[81:82], v[81:82], v[46:47]
	v_add_f64 v[83:84], v[83:84], v[14:15]
	v_add_f64 v[46:47], v[46:47], -v[50:51]
	v_add_f64 v[71:72], v[28:29], v[30:31]
	v_add_f64 v[73:74], v[16:17], v[32:33]
	v_add_f64 v[75:76], v[24:25], v[34:35]
	v_add_f64 v[97:98], v[24:25], -v[28:29]
	v_fma_f64 v[44:45], v[44:45], -0.5, v[91:92]
	v_add_f64 v[77:78], v[26:27], v[20:21]
	v_fma_f64 v[38:39], v[38:39], -0.5, v[89:90]
	v_fma_f64 v[48:49], v[48:49], -0.5, v[89:90]
	v_add_f64 v[89:90], v[9:10], v[26:27]
	v_add_f64 v[36:37], v[36:37], v[54:55]
	v_add_f64 v[54:55], v[32:33], -v[20:21]
	v_fma_f64 v[52:53], v[52:53], -0.5, v[91:92]
	v_add_f64 v[101:102], v[26:27], -v[16:17]
	v_add_f64 v[91:92], v[28:29], -v[24:25]
	;; [unrolled: 1-line block ×5, first 2 shown]
	v_add_f64 v[85:86], v[85:86], v[93:94]
	v_add_f64 v[93:94], v[16:17], -v[32:33]
	v_add_f64 v[87:88], v[87:88], v[95:96]
	v_add_f64 v[95:96], v[28:29], -v[30:31]
	v_add_f64 v[79:80], v[22:23], -v[18:19]
	v_fma_f64 v[71:72], v[71:72], -0.5, v[7:8]
	v_fma_f64 v[73:74], v[73:74], -0.5, v[9:10]
	;; [unrolled: 1-line block ×3, first 2 shown]
	v_add_f64 v[75:76], v[16:17], -v[26:27]
	v_add_f64 v[26:27], v[26:27], -v[20:21]
	v_fma_f64 v[9:10], v[77:78], -0.5, v[9:10]
	v_add_f64 v[77:78], v[30:31], -v[34:35]
	v_add_f64 v[14:15], v[105:106], v[28:29]
	v_add_f64 v[16:17], v[89:90], v[16:17]
	v_fma_f64 v[28:29], v[5:6], s[10:11], v[38:39]
	v_add_f64 v[50:51], v[81:82], v[50:51]
	v_add_f64 v[18:19], v[83:84], v[18:19]
	v_fma_f64 v[81:82], v[107:108], s[12:13], v[48:49]
	v_fma_f64 v[83:84], v[46:47], s[10:11], v[52:53]
	;; [unrolled: 1-line block ×5, first 2 shown]
	v_add_f64 v[97:98], v[97:98], v[99:100]
	v_add_f64 v[99:100], v[101:102], v[103:104]
	;; [unrolled: 1-line block ×3, first 2 shown]
	v_and_b32_e32 v69, 0xff, v56
	v_mov_b32_e32 v70, 6
	v_fma_f64 v[101:102], v[93:94], s[12:13], v[7:8]
	v_add_f64 v[54:55], v[75:76], v[54:55]
	v_fma_f64 v[75:76], v[42:43], s[12:13], v[44:45]
	v_fma_f64 v[44:45], v[42:43], s[10:11], v[44:45]
	v_add_f64 v[77:78], v[91:92], v[77:78]
	v_fma_f64 v[89:90], v[26:27], s[10:11], v[71:72]
	v_fma_f64 v[91:92], v[24:25], s[12:13], v[73:74]
	;; [unrolled: 1-line block ×7, first 2 shown]
	v_add_f64 v[32:33], v[16:17], v[32:33]
	v_fma_f64 v[28:29], v[107:108], s[4:5], v[28:29]
	v_add_f64 v[30:31], v[14:15], v[30:31]
	v_fma_f64 v[48:49], v[5:6], s[6:7], v[48:49]
	v_fma_f64 v[38:39], v[107:108], s[6:7], v[38:39]
	v_mul_lo_u16 v66, 0xcd, v69
	v_lshrrev_b32_e32 v15, 1, v58
	v_lshrrev_b16 v14, 11, v66
	v_mul_lo_u32 v66, v15, 10
	v_fma_f64 v[75:76], v[46:47], s[6:7], v[75:76]
	v_fma_f64 v[44:45], v[46:47], s[4:5], v[44:45]
	;; [unrolled: 1-line block ×13, first 2 shown]
	v_add_f64 v[5:6], v[50:51], v[40:41]
	v_add_f64 v[7:8], v[18:19], v[22:23]
	;; [unrolled: 1-line block ×3, first 2 shown]
	v_fma_f64 v[19:20], v[36:37], s[0:1], v[28:29]
	v_add_f64 v[15:16], v[30:31], v[34:35]
	v_fma_f64 v[31:32], v[85:86], s[0:1], v[48:49]
	v_fma_f64 v[23:24], v[36:37], s[0:1], v[38:39]
	v_mul_lo_u16 v95, v14, 10
	v_or_b32_e32 v4, v66, v4
	v_fma_f64 v[21:22], v[79:80], s[0:1], v[75:76]
	v_fma_f64 v[25:26], v[79:80], s[0:1], v[44:45]
	;; [unrolled: 1-line block ×13, first 2 shown]
	v_mov_b32_e32 v9, 0xcccd
	v_sub_nc_u16 v55, v56, v95
	v_lshl_add_u32 v4, v4, 4, 0
	ds_write_b128 v0, v[5:8]
	ds_write_b128 v0, v[19:22] offset:32
	ds_write_b128 v0, v[27:30] offset:64
	;; [unrolled: 1-line block ×4, first 2 shown]
	ds_write_b128 v4, v[15:18]
	ds_write_b128 v4, v[35:38] offset:32
	ds_write_b128 v4, v[43:46] offset:64
	ds_write_b128 v4, v[47:50] offset:96
	ds_write_b128 v4, v[39:42] offset:128
	v_mul_u32_u24_sdwa v9, v58, v9 dst_sel:DWORD dst_unused:UNUSED_PAD src0_sel:WORD_0 src1_sel:DWORD
	v_lshlrev_b32_sdwa v51, v70, v55 dst_sel:DWORD dst_unused:UNUSED_PAD src0_sel:DWORD src1_sel:BYTE_0
	s_waitcnt lgkmcnt(0)
	s_barrier
	buffer_gl0_inv
	v_lshrrev_b32_e32 v66, 19, v9
	s_clause 0x2
	global_load_dwordx4 v[4:7], v51, s[8:9] offset:128
	global_load_dwordx4 v[8:11], v51, s[8:9] offset:144
	;; [unrolled: 1-line block ×3, first 2 shown]
	v_mul_lo_u16 v0, v66, 10
	v_sub_nc_u16 v105, v58, v0
	v_lshlrev_b32_sdwa v0, v70, v105 dst_sel:DWORD dst_unused:UNUSED_PAD src0_sel:DWORD src1_sel:WORD_0
	s_clause 0x4
	global_load_dwordx4 v[19:22], v51, s[8:9] offset:176
	global_load_dwordx4 v[23:26], v0, s[8:9] offset:128
	;; [unrolled: 1-line block ×5, first 2 shown]
	ds_read_b128 v[39:42], v1
	ds_read_b128 v[43:46], v3
	ds_read_b128 v[47:50], v65 offset:16800
	ds_read_b128 v[51:54], v65 offset:25200
	;; [unrolled: 1-line block ×3, first 2 shown]
	ds_read_b128 v[0:3], v2
	ds_read_b128 v[75:78], v65 offset:14000
	ds_read_b128 v[79:82], v65 offset:8400
	ds_read_b128 v[83:86], v65 offset:19600
	ds_read_b128 v[87:90], v65
	s_waitcnt vmcnt(0) lgkmcnt(0)
	s_barrier
	buffer_gl0_inv
	v_mul_f64 v[91:92], v[41:42], v[6:7]
	v_mul_f64 v[6:7], v[39:40], v[6:7]
	;; [unrolled: 1-line block ×7, first 2 shown]
	v_fma_f64 v[39:40], v[39:40], v[4:5], -v[91:92]
	v_fma_f64 v[4:5], v[41:42], v[4:5], v[6:7]
	v_mul_f64 v[6:7], v[71:72], v[21:22]
	v_mul_f64 v[21:22], v[81:82], v[25:26]
	;; [unrolled: 1-line block ×4, first 2 shown]
	v_fma_f64 v[43:44], v[43:44], v[8:9], -v[93:94]
	v_fma_f64 v[8:9], v[45:46], v[8:9], v[10:11]
	v_mul_f64 v[10:11], v[75:76], v[29:30]
	v_mul_f64 v[29:30], v[85:86], v[33:34]
	;; [unrolled: 1-line block ×4, first 2 shown]
	v_fma_f64 v[47:48], v[47:48], v[15:16], -v[95:96]
	v_fma_f64 v[15:16], v[49:50], v[15:16], v[17:18]
	v_mul_f64 v[17:18], v[51:52], v[37:38]
	v_fma_f64 v[37:38], v[71:72], v[19:20], -v[97:98]
	v_fma_f64 v[6:7], v[73:74], v[19:20], v[6:7]
	v_fma_f64 v[19:20], v[79:80], v[23:24], -v[21:22]
	v_fma_f64 v[21:22], v[81:82], v[23:24], v[25:26]
	v_fma_f64 v[23:24], v[75:76], v[27:28], -v[41:42]
	v_add_f64 v[79:80], v[87:88], v[39:40]
	v_add_f64 v[81:82], v[89:90], v[4:5]
	v_fma_f64 v[10:11], v[77:78], v[27:28], v[10:11]
	v_fma_f64 v[25:26], v[83:84], v[31:32], -v[29:30]
	v_fma_f64 v[29:30], v[51:52], v[35:36], -v[45:46]
	v_fma_f64 v[27:28], v[85:86], v[31:32], v[33:34]
	v_add_f64 v[33:34], v[43:44], v[47:48]
	v_add_f64 v[51:52], v[4:5], -v[8:9]
	v_fma_f64 v[31:32], v[53:54], v[35:36], v[17:18]
	v_add_f64 v[17:18], v[39:40], -v[43:44]
	v_add_f64 v[35:36], v[8:9], v[15:16]
	v_add_f64 v[41:42], v[39:40], v[37:38]
	v_add_f64 v[49:50], v[37:38], -v[47:48]
	v_add_f64 v[83:84], v[43:44], -v[39:40]
	;; [unrolled: 1-line block ×5, first 2 shown]
	v_add_f64 v[45:46], v[4:5], v[6:7]
	v_add_f64 v[77:78], v[6:7], -v[15:16]
	v_add_f64 v[103:104], v[0:1], v[19:20]
	v_add_f64 v[4:5], v[4:5], -v[6:7]
	v_add_f64 v[93:94], v[15:16], -v[6:7]
	;; [unrolled: 1-line block ×4, first 2 shown]
	v_add_f64 v[53:54], v[23:24], v[25:26]
	v_add_f64 v[73:74], v[19:20], v[29:30]
	;; [unrolled: 1-line block ×3, first 2 shown]
	v_fma_f64 v[33:34], v[33:34], -0.5, v[87:88]
	v_add_f64 v[97:98], v[29:30], -v[25:26]
	v_add_f64 v[75:76], v[21:22], v[31:32]
	v_add_f64 v[101:102], v[31:32], -v[27:28]
	v_fma_f64 v[35:36], v[35:36], -0.5, v[89:90]
	v_fma_f64 v[41:42], v[41:42], -0.5, v[87:88]
	v_add_f64 v[87:88], v[2:3], v[21:22]
	v_add_f64 v[49:50], v[17:18], v[49:50]
	v_add_f64 v[17:18], v[27:28], -v[31:32]
	v_add_f64 v[83:84], v[83:84], v[91:92]
	v_add_f64 v[91:92], v[23:24], -v[25:26]
	v_fma_f64 v[45:46], v[45:46], -0.5, v[89:90]
	v_add_f64 v[89:90], v[23:24], -v[19:20]
	v_add_f64 v[51:52], v[51:52], v[77:78]
	v_add_f64 v[77:78], v[79:80], v[43:44]
	v_add_f64 v[79:80], v[8:9], -v[15:16]
	v_add_f64 v[43:44], v[43:44], -v[47:48]
	v_add_f64 v[19:20], v[19:20], -v[29:30]
	v_fma_f64 v[53:54], v[53:54], -0.5, v[0:1]
	v_fma_f64 v[0:1], v[73:74], -0.5, v[0:1]
	v_add_f64 v[73:74], v[10:11], -v[21:22]
	v_fma_f64 v[71:72], v[71:72], -0.5, v[2:3]
	v_add_f64 v[21:22], v[21:22], -v[31:32]
	;; [unrolled: 2-line block ×3, first 2 shown]
	v_add_f64 v[8:9], v[81:82], v[8:9]
	v_add_f64 v[81:82], v[10:11], -v[27:28]
	v_add_f64 v[23:24], v[103:104], v[23:24]
	v_add_f64 v[10:11], v[87:88], v[10:11]
	v_fma_f64 v[87:88], v[39:40], s[12:13], v[35:36]
	v_fma_f64 v[35:36], v[39:40], s[10:11], v[35:36]
	v_add_f64 v[85:86], v[85:86], v[93:94]
	v_add_f64 v[93:94], v[95:96], v[97:98]
	;; [unrolled: 1-line block ×4, first 2 shown]
	v_fma_f64 v[77:78], v[79:80], s[12:13], v[41:42]
	v_fma_f64 v[41:42], v[79:80], s[10:11], v[41:42]
	v_add_f64 v[73:74], v[73:74], v[17:18]
	v_fma_f64 v[17:18], v[4:5], s[10:11], v[33:34]
	v_fma_f64 v[33:34], v[4:5], s[12:13], v[33:34]
	;; [unrolled: 1-line block ×3, first 2 shown]
	v_add_f64 v[75:76], v[89:90], v[75:76]
	v_fma_f64 v[89:90], v[43:44], s[10:11], v[45:46]
	v_fma_f64 v[45:46], v[43:44], s[12:13], v[45:46]
	v_fma_f64 v[99:100], v[19:20], s[12:13], v[71:72]
	v_fma_f64 v[53:54], v[21:22], s[12:13], v[53:54]
	v_fma_f64 v[101:102], v[81:82], s[12:13], v[0:1]
	v_fma_f64 v[103:104], v[91:92], s[10:11], v[2:3]
	v_fma_f64 v[0:1], v[81:82], s[10:11], v[0:1]
	v_fma_f64 v[2:3], v[91:92], s[12:13], v[2:3]
	v_fma_f64 v[71:72], v[19:20], s[10:11], v[71:72]
	v_add_f64 v[8:9], v[8:9], v[15:16]
	v_add_f64 v[23:24], v[23:24], v[25:26]
	;; [unrolled: 1-line block ×3, first 2 shown]
	v_fma_f64 v[27:28], v[43:44], s[6:7], v[87:88]
	v_fma_f64 v[35:36], v[43:44], s[4:5], v[35:36]
	v_fma_f64 v[43:44], v[4:5], s[4:5], v[77:78]
	v_fma_f64 v[4:5], v[4:5], s[6:7], v[41:42]
	v_add_f64 v[15:16], v[47:48], v[37:38]
	v_fma_f64 v[25:26], v[79:80], s[4:5], v[17:18]
	v_fma_f64 v[33:34], v[79:80], s[6:7], v[33:34]
	;; [unrolled: 1-line block ×12, first 2 shown]
	v_add_f64 v[17:18], v[8:9], v[6:7]
	v_add_f64 v[19:20], v[23:24], v[29:30]
	;; [unrolled: 1-line block ×3, first 2 shown]
	v_mov_b32_e32 v72, 0x320
	v_fma_f64 v[29:30], v[51:52], s[0:1], v[35:36]
	v_fma_f64 v[31:32], v[83:84], s[0:1], v[43:44]
	;; [unrolled: 1-line block ×3, first 2 shown]
	v_mov_b32_e32 v71, 4
	v_mul_u32_u24_sdwa v14, v14, v72 dst_sel:DWORD dst_unused:UNUSED_PAD src0_sel:WORD_0 src1_sel:DWORD
	v_fma_f64 v[23:24], v[49:50], s[0:1], v[25:26]
	v_fma_f64 v[25:26], v[51:52], s[0:1], v[27:28]
	;; [unrolled: 1-line block ×3, first 2 shown]
	v_lshlrev_b32_sdwa v44, v71, v55 dst_sel:DWORD dst_unused:UNUSED_PAD src0_sel:DWORD src1_sel:BYTE_0
	v_fma_f64 v[33:34], v[85:86], s[0:1], v[77:78]
	v_fma_f64 v[37:38], v[85:86], s[0:1], v[39:40]
	;; [unrolled: 1-line block ×10, first 2 shown]
	v_mul_u32_u24_e32 v43, 0x320, v66
	v_lshlrev_b32_sdwa v45, v71, v105 dst_sel:DWORD dst_unused:UNUSED_PAD src0_sel:DWORD src1_sel:WORD_0
	v_add3_u32 v14, 0, v14, v44
	v_cmp_gt_u32_e64 s0, 0x4b, v56
	v_add_nc_u32_e32 v66, v12, v13
	v_add3_u32 v43, 0, v43, v45
	ds_write_b128 v14, v[15:18]
	ds_write_b128 v14, v[23:26] offset:160
	ds_write_b128 v14, v[31:34] offset:320
	;; [unrolled: 1-line block ×4, first 2 shown]
	ds_write_b128 v43, v[19:22]
	ds_write_b128 v43, v[39:42] offset:160
	ds_write_b128 v43, v[0:3] offset:320
	;; [unrolled: 1-line block ×4, first 2 shown]
	s_waitcnt lgkmcnt(0)
	s_barrier
	buffer_gl0_inv
	ds_read_b128 v[28:31], v65
	ds_read_b128 v[48:51], v65 offset:4000
	ds_read_b128 v[44:47], v65 offset:8000
	;; [unrolled: 1-line block ×6, first 2 shown]
                                        ; implicit-def: $vgpr26_vgpr27
                                        ; implicit-def: $vgpr22_vgpr23
                                        ; implicit-def: $vgpr18_vgpr19
                                        ; implicit-def: $vgpr14_vgpr15
	s_and_saveexec_b32 s1, s0
	s_cbranch_execz .LBB0_15
; %bb.14:
	ds_read_b128 v[0:3], v66
	ds_read_b128 v[4:7], v65 offset:6800
	ds_read_b128 v[8:11], v65 offset:10800
	;; [unrolled: 1-line block ×6, first 2 shown]
.LBB0_15:
	s_or_b32 exec_lo, exec_lo, s1
	v_mul_lo_u16 v69, v69, 41
	s_mov_b32 s10, 0x37e14327
	s_mov_b32 s14, 0xe976ee23
	;; [unrolled: 1-line block ×4, first 2 shown]
	v_lshrrev_b16 v106, 11, v69
	s_mov_b32 s6, 0x429ad128
	s_mov_b32 s4, 0x36b3c0b5
	;; [unrolled: 1-line block ×4, first 2 shown]
	v_mul_lo_u16 v69, v106, 50
	s_mov_b32 s12, 0xaaaaaaaa
	s_mov_b32 s20, 0xb247c609
	;; [unrolled: 1-line block ×4, first 2 shown]
	v_sub_nc_u16 v107, v56, v69
	s_mov_b32 s21, 0x3fd5d0dc
	s_mov_b32 s17, 0x3fe77f67
	;; [unrolled: 1-line block ×4, first 2 shown]
	v_mul_u32_u24_sdwa v69, v107, v70 dst_sel:DWORD dst_unused:UNUSED_PAD src0_sel:BYTE_0 src1_sel:DWORD
	s_mov_b32 s18, s16
	s_mov_b32 s22, s20
	;; [unrolled: 1-line block ×4, first 2 shown]
	v_lshlrev_b32_e32 v69, 4, v69
	s_clause 0x5
	global_load_dwordx4 v[72:75], v69, s[8:9] offset:768
	global_load_dwordx4 v[76:79], v69, s[8:9] offset:784
	;; [unrolled: 1-line block ×6, first 2 shown]
	s_waitcnt vmcnt(0) lgkmcnt(0)
	s_barrier
	buffer_gl0_inv
	v_mul_f64 v[69:70], v[50:51], v[74:75]
	v_mul_f64 v[74:75], v[48:49], v[74:75]
	;; [unrolled: 1-line block ×12, first 2 shown]
	v_fma_f64 v[48:49], v[48:49], v[72:73], -v[69:70]
	v_fma_f64 v[50:51], v[50:51], v[72:73], v[74:75]
	v_fma_f64 v[44:45], v[44:45], v[76:77], -v[96:97]
	v_fma_f64 v[46:47], v[46:47], v[76:77], v[78:79]
	;; [unrolled: 2-line block ×6, first 2 shown]
	v_add_f64 v[69:70], v[48:49], v[52:53]
	v_add_f64 v[72:73], v[50:51], v[54:55]
	;; [unrolled: 1-line block ×4, first 2 shown]
	v_add_f64 v[40:41], v[44:45], -v[40:41]
	v_add_f64 v[42:43], v[46:47], -v[42:43]
	v_add_f64 v[44:45], v[36:37], v[32:33]
	v_add_f64 v[46:47], v[38:39], v[34:35]
	v_add_f64 v[32:33], v[32:33], -v[36:37]
	v_add_f64 v[34:35], v[34:35], -v[38:39]
	;; [unrolled: 1-line block ×4, first 2 shown]
	v_add_f64 v[48:49], v[74:75], v[69:70]
	v_add_f64 v[50:51], v[76:77], v[72:73]
	v_add_f64 v[52:53], v[69:70], -v[44:45]
	v_add_f64 v[54:55], v[72:73], -v[46:47]
	;; [unrolled: 1-line block ×6, first 2 shown]
	v_add_f64 v[40:41], v[32:33], v[40:41]
	v_add_f64 v[42:43], v[34:35], v[42:43]
	v_add_f64 v[86:87], v[36:37], -v[32:33]
	v_add_f64 v[88:89], v[38:39], -v[34:35]
	v_add_f64 v[48:49], v[44:45], v[48:49]
	v_add_f64 v[50:51], v[46:47], v[50:51]
	v_add_f64 v[44:45], v[44:45], -v[74:75]
	v_add_f64 v[46:47], v[46:47], -v[76:77]
	v_mul_f64 v[52:53], v[52:53], s[10:11]
	v_mul_f64 v[54:55], v[54:55], s[10:11]
	;; [unrolled: 1-line block ×6, first 2 shown]
	v_add_f64 v[36:37], v[40:41], v[36:37]
	v_add_f64 v[38:39], v[42:43], v[38:39]
	;; [unrolled: 1-line block ×4, first 2 shown]
	v_add_f64 v[28:29], v[74:75], -v[69:70]
	v_add_f64 v[30:31], v[76:77], -v[72:73]
	v_mul_f64 v[69:70], v[44:45], s[4:5]
	v_mul_f64 v[72:73], v[46:47], s[4:5]
	v_fma_f64 v[40:41], v[44:45], s[4:5], v[52:53]
	v_fma_f64 v[42:43], v[46:47], s[4:5], v[54:55]
	;; [unrolled: 1-line block ×4, first 2 shown]
	v_fma_f64 v[74:75], v[82:83], s[6:7], -v[78:79]
	v_fma_f64 v[76:77], v[84:85], s[6:7], -v[80:81]
	;; [unrolled: 1-line block ×4, first 2 shown]
	v_fma_f64 v[48:49], v[48:49], s[12:13], v[32:33]
	v_fma_f64 v[50:51], v[50:51], s[12:13], v[34:35]
	v_fma_f64 v[52:53], v[28:29], s[18:19], -v[52:53]
	v_fma_f64 v[54:55], v[30:31], s[18:19], -v[54:55]
	;; [unrolled: 1-line block ×4, first 2 shown]
	v_fma_f64 v[69:70], v[36:37], s[24:25], v[44:45]
	v_fma_f64 v[72:73], v[38:39], s[24:25], v[46:47]
	;; [unrolled: 1-line block ×6, first 2 shown]
	v_add_f64 v[82:83], v[40:41], v[48:49]
	v_add_f64 v[84:85], v[42:43], v[50:51]
	;; [unrolled: 1-line block ×7, first 2 shown]
	v_add_f64 v[38:39], v[84:85], -v[69:70]
	v_add_f64 v[40:41], v[80:81], v[52:53]
	v_add_f64 v[42:43], v[54:55], -v[78:79]
	v_add_f64 v[44:45], v[28:29], -v[76:77]
	v_add_f64 v[46:47], v[74:75], v[30:31]
	v_add_f64 v[48:49], v[76:77], v[28:29]
	v_add_f64 v[50:51], v[30:31], -v[74:75]
	v_add_f64 v[52:53], v[52:53], -v[80:81]
	v_add_f64 v[54:55], v[78:79], v[54:55]
	v_add_f64 v[72:73], v[82:83], -v[72:73]
	v_add_f64 v[74:75], v[69:70], v[84:85]
	v_mov_b32_e32 v30, 0x15e0
	v_lshlrev_b32_sdwa v31, v71, v107 dst_sel:DWORD dst_unused:UNUSED_PAD src0_sel:DWORD src1_sel:BYTE_0
	v_sub_nc_u32_e32 v28, 0, v67
	v_mul_u32_u24_sdwa v29, v106, v30 dst_sel:DWORD dst_unused:UNUSED_PAD src0_sel:WORD_0 src1_sel:DWORD
	v_add3_u32 v31, 0, v29, v31
	v_sub_nc_u32_e32 v29, 0, v68
	ds_write_b128 v31, v[32:35]
	ds_write_b128 v31, v[36:39] offset:800
	ds_write_b128 v31, v[40:43] offset:1600
	;; [unrolled: 1-line block ×6, first 2 shown]
	s_and_saveexec_b32 s1, s0
	s_cbranch_execz .LBB0_17
; %bb.16:
	v_lshrrev_b16 v31, 1, v58
	v_mov_b32_e32 v32, 0x147b
	v_mul_u32_u24_sdwa v31, v31, v32 dst_sel:DWORD dst_unused:UNUSED_PAD src0_sel:WORD_0 src1_sel:DWORD
	v_mov_b32_e32 v32, 6
	v_lshrrev_b32_e32 v31, 17, v31
	v_mul_lo_u16 v31, v31, 50
	v_sub_nc_u16 v55, v58, v31
	v_mul_u32_u24_sdwa v31, v55, v32 dst_sel:DWORD dst_unused:UNUSED_PAD src0_sel:WORD_0 src1_sel:DWORD
	v_lshlrev_b32_e32 v51, 4, v31
	s_clause 0x5
	global_load_dwordx4 v[31:34], v51, s[8:9] offset:784
	global_load_dwordx4 v[35:38], v51, s[8:9] offset:832
	;; [unrolled: 1-line block ×6, first 2 shown]
	s_waitcnt vmcnt(5)
	v_mul_f64 v[67:68], v[8:9], v[33:34]
	s_waitcnt vmcnt(4)
	v_mul_f64 v[69:70], v[20:21], v[37:38]
	;; [unrolled: 2-line block ×4, first 2 shown]
	v_mul_f64 v[33:34], v[10:11], v[33:34]
	v_mul_f64 v[37:38], v[22:23], v[37:38]
	;; [unrolled: 1-line block ×4, first 2 shown]
	s_waitcnt vmcnt(1)
	v_mul_f64 v[75:76], v[18:19], v[49:50]
	s_waitcnt vmcnt(0)
	v_mul_f64 v[77:78], v[14:15], v[53:54]
	v_mul_f64 v[53:54], v[12:13], v[53:54]
	;; [unrolled: 1-line block ×3, first 2 shown]
	v_fma_f64 v[10:11], v[10:11], v[31:32], v[67:68]
	v_fma_f64 v[22:23], v[22:23], v[35:36], v[69:70]
	;; [unrolled: 1-line block ×4, first 2 shown]
	v_fma_f64 v[8:9], v[8:9], v[31:32], -v[33:34]
	v_fma_f64 v[20:21], v[20:21], v[35:36], -v[37:38]
	;; [unrolled: 1-line block ×6, first 2 shown]
	v_fma_f64 v[14:15], v[14:15], v[51:52], v[53:54]
	v_fma_f64 v[18:19], v[18:19], v[47:48], v[49:50]
	v_add_f64 v[31:32], v[10:11], v[22:23]
	v_add_f64 v[10:11], v[10:11], -v[22:23]
	v_add_f64 v[33:34], v[6:7], v[26:27]
	v_add_f64 v[6:7], v[6:7], -v[26:27]
	;; [unrolled: 2-line block ×4, first 2 shown]
	v_add_f64 v[39:40], v[16:17], -v[12:13]
	v_add_f64 v[12:13], v[12:13], v[16:17]
	v_add_f64 v[20:21], v[14:15], v[18:19]
	v_add_f64 v[14:15], v[18:19], -v[14:15]
	v_add_f64 v[16:17], v[31:32], v[33:34]
	v_add_f64 v[45:46], v[10:11], -v[6:7]
	;; [unrolled: 2-line block ×3, first 2 shown]
	v_add_f64 v[22:23], v[39:40], -v[8:9]
	v_add_f64 v[26:27], v[37:38], -v[12:13]
	;; [unrolled: 1-line block ×4, first 2 shown]
	v_add_f64 v[8:9], v[39:40], v[8:9]
	v_add_f64 v[39:40], v[4:5], -v[39:40]
	v_add_f64 v[10:11], v[14:15], v[10:11]
	v_add_f64 v[14:15], v[6:7], -v[14:15]
	;; [unrolled: 2-line block ×3, first 2 shown]
	v_add_f64 v[31:32], v[31:32], -v[33:34]
	v_mul_f64 v[49:50], v[45:46], s[6:7]
	v_add_f64 v[18:19], v[12:13], v[18:19]
	v_add_f64 v[12:13], v[12:13], -v[35:36]
	v_mul_f64 v[22:23], v[22:23], s[14:15]
	v_mul_f64 v[26:27], v[26:27], s[10:11]
	;; [unrolled: 1-line block ×5, first 2 shown]
	v_add_f64 v[35:36], v[35:36], -v[37:38]
	v_add_f64 v[4:5], v[8:9], v[4:5]
	v_add_f64 v[6:7], v[10:11], v[6:7]
	;; [unrolled: 1-line block ×3, first 2 shown]
	v_mul_f64 v[33:34], v[20:21], s[4:5]
	v_add_f64 v[0:1], v[0:1], v[18:19]
	v_mul_f64 v[37:38], v[12:13], s[4:5]
	v_fma_f64 v[8:9], v[39:40], s[20:21], v[22:23]
	v_fma_f64 v[12:13], v[12:13], s[4:5], v[26:27]
	;; [unrolled: 1-line block ×3, first 2 shown]
	v_fma_f64 v[20:21], v[39:40], s[22:23], -v[47:48]
	v_fma_f64 v[22:23], v[41:42], s[6:7], -v[22:23]
	;; [unrolled: 1-line block ×5, first 2 shown]
	v_fma_f64 v[16:17], v[16:17], s[12:13], v[2:3]
	v_fma_f64 v[31:32], v[31:32], s[16:17], -v[33:34]
	v_fma_f64 v[33:34], v[14:15], s[20:21], v[43:44]
	v_fma_f64 v[14:15], v[14:15], s[22:23], -v[49:50]
	;; [unrolled: 2-line block ×3, first 2 shown]
	v_fma_f64 v[8:9], v[4:5], s[24:25], v[8:9]
	v_fma_f64 v[20:21], v[4:5], s[24:25], v[20:21]
	v_fma_f64 v[4:5], v[4:5], s[24:25], v[22:23]
	v_fma_f64 v[39:40], v[6:7], s[24:25], v[39:40]
	v_add_f64 v[37:38], v[10:11], v[16:17]
	v_add_f64 v[22:23], v[24:25], v[16:17]
	;; [unrolled: 1-line block ×3, first 2 shown]
	v_fma_f64 v[31:32], v[6:7], s[24:25], v[33:34]
	v_add_f64 v[41:42], v[12:13], v[18:19]
	v_fma_f64 v[33:34], v[6:7], s[24:25], v[14:15]
	v_add_f64 v[43:44], v[26:27], v[18:19]
	v_add_f64 v[12:13], v[35:36], v[18:19]
	v_and_b32_e32 v6, 0xff, v58
	v_mul_lo_u16 v6, v6, 41
	v_lshrrev_b16 v35, 11, v6
	v_add_f64 v[26:27], v[37:38], -v[8:9]
	v_add_f64 v[10:11], v[20:21], v[22:23]
	v_add_f64 v[22:23], v[22:23], -v[20:21]
	v_add_f64 v[14:15], v[16:17], -v[4:5]
	v_add_f64 v[24:25], v[31:32], v[41:42]
	v_add_f64 v[18:19], v[4:5], v[16:17]
	;; [unrolled: 1-line block ×3, first 2 shown]
	v_add_f64 v[16:17], v[12:13], -v[39:40]
	v_add_f64 v[12:13], v[39:40], v[12:13]
	v_add_f64 v[6:7], v[8:9], v[37:38]
	v_add_f64 v[8:9], v[43:44], -v[33:34]
	v_add_f64 v[4:5], v[41:42], -v[31:32]
	v_mov_b32_e32 v31, 4
	v_mul_u32_u24_sdwa v30, v35, v30 dst_sel:DWORD dst_unused:UNUSED_PAD src0_sel:WORD_0 src1_sel:DWORD
	v_lshlrev_b32_sdwa v31, v31, v55 dst_sel:DWORD dst_unused:UNUSED_PAD src0_sel:DWORD src1_sel:WORD_0
	v_add3_u32 v30, 0, v30, v31
	ds_write_b128 v30, v[0:3]
	ds_write_b128 v30, v[24:27] offset:800
	ds_write_b128 v30, v[20:23] offset:1600
	;; [unrolled: 1-line block ×6, first 2 shown]
.LBB0_17:
	s_or_b32 exec_lo, exec_lo, s1
	v_lshlrev_b32_e32 v1, 2, v56
	v_mov_b32_e32 v2, 0
	s_waitcnt lgkmcnt(0)
	s_barrier
	buffer_gl0_inv
	s_mov_b32 s4, 0x134454ff
	v_lshlrev_b64 v[0:1], 4, v[1:2]
	s_mov_b32 s5, 0x3fee6f0e
	s_mov_b32 s11, 0xbfee6f0e
	;; [unrolled: 1-line block ×4, first 2 shown]
	v_add_co_u32 v0, s0, s8, v0
	v_add_co_ci_u32_e64 v5, s0, s9, v1, s0
	v_lshlrev_b32_e32 v1, 2, v58
	v_add_co_u32 v3, s0, 0x1000, v0
	v_add_co_ci_u32_e64 v4, s0, 0, v5, s0
	v_add_co_u32 v11, s0, 0x15c0, v0
	v_add_co_ci_u32_e64 v12, s0, 0, v5, s0
	v_lshlrev_b64 v[0:1], 4, v[1:2]
	s_clause 0x3
	global_load_dwordx4 v[3:6], v[3:4], off offset:1472
	global_load_dwordx4 v[7:10], v[11:12], off offset:32
	;; [unrolled: 1-line block ×4, first 2 shown]
	v_add_co_u32 v13, s0, s8, v0
	v_add_co_ci_u32_e64 v22, s0, s9, v1, s0
	v_add_co_u32 v0, s0, 0x1000, v13
	v_add_co_ci_u32_e64 v1, s0, 0, v22, s0
	v_add_co_u32 v11, s0, 0x15c0, v13
	v_add_co_ci_u32_e64 v12, s0, 0, v22, s0
	s_clause 0x3
	global_load_dwordx4 v[22:25], v[0:1], off offset:1472
	global_load_dwordx4 v[30:33], v[11:12], off offset:16
	;; [unrolled: 1-line block ×4, first 2 shown]
	v_add_nc_u32_e32 v13, v59, v28
	v_add_nc_u32_e32 v12, v64, v29
	ds_read_b128 v[26:29], v13
	ds_read_b128 v[42:45], v12
	ds_read_b128 v[46:49], v65 offset:16800
	ds_read_b128 v[50:53], v65 offset:22400
	;; [unrolled: 1-line block ×6, first 2 shown]
	ds_read_b128 v[83:86], v65
	s_mov_b32 s0, 0x4755a5e
	s_mov_b32 s1, 0x3fe2cf23
	;; [unrolled: 1-line block ×3, first 2 shown]
	s_waitcnt vmcnt(7) lgkmcnt(8)
	v_mul_f64 v[0:1], v[28:29], v[5:6]
	v_mul_f64 v[5:6], v[26:27], v[5:6]
	s_waitcnt vmcnt(5) lgkmcnt(7)
	v_mul_f64 v[54:55], v[44:45], v[16:17]
	v_mul_f64 v[16:17], v[42:43], v[16:17]
	s_waitcnt lgkmcnt(6)
	v_mul_f64 v[87:88], v[48:49], v[9:10]
	v_mul_f64 v[9:10], v[46:47], v[9:10]
	s_waitcnt vmcnt(4) lgkmcnt(5)
	v_mul_f64 v[89:90], v[50:51], v[20:21]
	v_mul_f64 v[20:21], v[52:53], v[20:21]
	s_waitcnt vmcnt(3) lgkmcnt(4)
	;; [unrolled: 3-line block ×4, first 2 shown]
	v_mul_f64 v[95:96], v[77:78], v[36:37]
	v_mul_f64 v[36:37], v[75:76], v[36:37]
	v_fma_f64 v[0:1], v[26:27], v[3:4], -v[0:1]
	v_fma_f64 v[26:27], v[28:29], v[3:4], v[5:6]
	ds_read_b128 v[3:6], v66
	s_waitcnt vmcnt(0) lgkmcnt(2)
	v_mul_f64 v[28:29], v[81:82], v[40:41]
	v_mul_f64 v[40:41], v[79:80], v[40:41]
	v_fma_f64 v[42:43], v[42:43], v[14:15], -v[54:55]
	v_fma_f64 v[14:15], v[44:45], v[14:15], v[16:17]
	v_fma_f64 v[16:17], v[46:47], v[7:8], -v[87:88]
	v_fma_f64 v[7:8], v[48:49], v[7:8], v[9:10]
	v_fma_f64 v[44:45], v[52:53], v[18:19], v[89:90]
	v_fma_f64 v[9:10], v[50:51], v[18:19], -v[20:21]
	s_waitcnt lgkmcnt(0)
	s_barrier
	buffer_gl0_inv
	v_fma_f64 v[18:19], v[67:68], v[22:23], -v[91:92]
	v_fma_f64 v[20:21], v[69:70], v[22:23], v[24:25]
	v_fma_f64 v[22:23], v[71:72], v[30:31], -v[93:94]
	v_fma_f64 v[24:25], v[73:74], v[30:31], v[32:33]
	;; [unrolled: 2-line block ×3, first 2 shown]
	v_add_f64 v[36:37], v[83:84], v[0:1]
	v_add_f64 v[69:70], v[85:86], v[26:27]
	v_fma_f64 v[28:29], v[79:80], v[38:39], -v[28:29]
	v_fma_f64 v[34:35], v[81:82], v[38:39], v[40:41]
	v_add_f64 v[48:49], v[0:1], -v[42:43]
	v_add_f64 v[54:55], v[42:43], -v[0:1]
	v_add_f64 v[38:39], v[42:43], v[16:17]
	v_add_f64 v[71:72], v[14:15], v[7:8]
	;; [unrolled: 1-line block ×4, first 2 shown]
	v_add_f64 v[40:41], v[26:27], -v[44:45]
	v_add_f64 v[50:51], v[9:10], -v[16:17]
	;; [unrolled: 1-line block ×6, first 2 shown]
	v_add_f64 v[89:90], v[3:4], v[18:19]
	v_add_f64 v[109:110], v[5:6], v[20:21]
	v_add_f64 v[46:47], v[14:15], -v[7:8]
	v_add_f64 v[87:88], v[22:23], v[30:31]
	v_add_f64 v[95:96], v[24:25], v[32:33]
	v_add_f64 v[75:76], v[42:43], -v[16:17]
	v_add_f64 v[67:68], v[16:17], -v[9:10]
	;; [unrolled: 1-line block ×3, first 2 shown]
	v_add_f64 v[91:92], v[18:19], v[28:29]
	v_add_f64 v[97:98], v[20:21], v[34:35]
	v_add_f64 v[93:94], v[20:21], -v[34:35]
	v_add_f64 v[101:102], v[18:19], -v[22:23]
	v_fma_f64 v[38:39], v[38:39], -0.5, v[83:84]
	v_fma_f64 v[71:72], v[71:72], -0.5, v[85:86]
	;; [unrolled: 1-line block ×4, first 2 shown]
	v_add_f64 v[103:104], v[28:29], -v[30:31]
	v_add_f64 v[105:106], v[22:23], -v[18:19]
	;; [unrolled: 1-line block ×6, first 2 shown]
	v_add_f64 v[36:37], v[36:37], v[42:43]
	v_add_f64 v[14:15], v[69:70], v[14:15]
	v_add_f64 v[85:86], v[20:21], -v[24:25]
	v_fma_f64 v[87:88], v[87:88], -0.5, v[3:4]
	v_add_f64 v[20:21], v[24:25], -v[20:21]
	v_add_f64 v[48:49], v[48:49], v[50:51]
	v_add_f64 v[50:51], v[32:33], -v[34:35]
	v_add_f64 v[69:70], v[26:27], v[81:82]
	v_fma_f64 v[3:4], v[91:92], -0.5, v[3:4]
	v_fma_f64 v[91:92], v[95:96], -0.5, v[5:6]
	;; [unrolled: 1-line block ×3, first 2 shown]
	v_add_f64 v[22:23], v[89:90], v[22:23]
	v_add_f64 v[24:25], v[109:110], v[24:25]
	v_fma_f64 v[26:27], v[40:41], s[4:5], v[38:39]
	v_fma_f64 v[89:90], v[0:1], s[10:11], v[71:72]
	v_fma_f64 v[38:39], v[40:41], s[10:11], v[38:39]
	v_fma_f64 v[81:82], v[46:47], s[10:11], v[52:53]
	v_fma_f64 v[95:96], v[75:76], s[4:5], v[73:74]
	v_fma_f64 v[52:53], v[46:47], s[4:5], v[52:53]
	v_fma_f64 v[73:74], v[75:76], s[10:11], v[73:74]
	v_fma_f64 v[71:72], v[0:1], s[4:5], v[71:72]
	v_add_f64 v[42:43], v[34:35], -v[32:33]
	v_add_f64 v[54:55], v[54:55], v[67:68]
	v_add_f64 v[67:68], v[77:78], v[79:80]
	;; [unrolled: 1-line block ×3, first 2 shown]
	v_fma_f64 v[97:98], v[93:94], s[4:5], v[87:88]
	v_add_f64 v[79:80], v[105:106], v[107:108]
	v_fma_f64 v[87:88], v[93:94], s[10:11], v[87:88]
	v_add_f64 v[16:17], v[36:37], v[16:17]
	v_add_f64 v[7:8], v[14:15], v[7:8]
	v_fma_f64 v[101:102], v[99:100], s[10:11], v[3:4]
	v_fma_f64 v[103:104], v[18:19], s[10:11], v[91:92]
	;; [unrolled: 1-line block ×6, first 2 shown]
	v_add_f64 v[50:51], v[20:21], v[50:51]
	v_add_f64 v[14:15], v[22:23], v[30:31]
	v_add_f64 v[20:21], v[24:25], v[32:33]
	v_fma_f64 v[22:23], v[46:47], s[0:1], v[26:27]
	v_fma_f64 v[32:33], v[75:76], s[6:7], v[89:90]
	;; [unrolled: 1-line block ×8, first 2 shown]
	v_add_f64 v[85:86], v[85:86], v[42:43]
	v_fma_f64 v[40:41], v[99:100], s[0:1], v[97:98]
	v_fma_f64 v[42:43], v[99:100], s[6:7], v[87:88]
	s_mov_b32 s5, exec_lo
	v_fma_f64 v[46:47], v[93:94], s[0:1], v[101:102]
	v_fma_f64 v[71:72], v[83:84], s[6:7], v[103:104]
	;; [unrolled: 1-line block ×6, first 2 shown]
	s_mov_b32 s0, 0x372fe950
	s_mov_b32 s1, 0x3fd3c6ef
	v_add_f64 v[3:4], v[16:17], v[9:10]
	v_add_f64 v[5:6], v[7:8], v[44:45]
	;; [unrolled: 1-line block ×3, first 2 shown]
	v_fma_f64 v[14:15], v[48:49], s[0:1], v[22:23]
	v_fma_f64 v[16:17], v[67:68], s[0:1], v[32:33]
	;; [unrolled: 1-line block ×7, first 2 shown]
	v_add_f64 v[9:10], v[20:21], v[34:35]
	v_fma_f64 v[20:21], v[67:68], s[0:1], v[36:37]
	v_fma_f64 v[30:31], v[77:78], s[0:1], v[40:41]
	;; [unrolled: 1-line block ×9, first 2 shown]
	s_add_u32 s1, s8, 0x6d40
	s_addc_u32 s4, s9, 0
                                        ; implicit-def: $vgpr0_vgpr1
	ds_write_b128 v65, v[3:6]
	ds_write_b128 v65, v[14:17] offset:5600
	ds_write_b128 v65, v[22:25] offset:11200
	;; [unrolled: 1-line block ×4, first 2 shown]
	ds_write_b128 v66, v[7:10]
	ds_write_b128 v66, v[30:33] offset:5600
	ds_write_b128 v66, v[38:41] offset:11200
	;; [unrolled: 1-line block ×4, first 2 shown]
	s_waitcnt lgkmcnt(0)
	s_barrier
	buffer_gl0_inv
	ds_read_b128 v[4:7], v65
	v_sub_nc_u32_e32 v14, 0, v57
                                        ; implicit-def: $vgpr8_vgpr9
                                        ; implicit-def: $vgpr10_vgpr11
	v_cmpx_ne_u32_e32 0, v56
	s_xor_b32 s5, exec_lo, s5
	s_cbranch_execz .LBB0_19
; %bb.18:
	v_mov_b32_e32 v57, v2
	v_lshlrev_b64 v[0:1], 4, v[56:57]
	v_add_co_u32 v0, s0, s1, v0
	v_add_co_ci_u32_e64 v1, s0, s4, v1, s0
	global_load_dwordx4 v[15:18], v[0:1], off
	ds_read_b128 v[0:3], v14 offset:28000
	s_waitcnt lgkmcnt(0)
	v_add_f64 v[8:9], v[4:5], -v[0:1]
	v_add_f64 v[10:11], v[6:7], v[2:3]
	v_add_f64 v[2:3], v[6:7], -v[2:3]
	v_add_f64 v[0:1], v[4:5], v[0:1]
	v_mul_f64 v[6:7], v[8:9], 0.5
	v_mul_f64 v[4:5], v[10:11], 0.5
	;; [unrolled: 1-line block ×3, first 2 shown]
	s_waitcnt vmcnt(0)
	v_mul_f64 v[8:9], v[6:7], v[17:18]
	v_fma_f64 v[10:11], v[4:5], v[17:18], v[2:3]
	v_fma_f64 v[2:3], v[4:5], v[17:18], -v[2:3]
	v_fma_f64 v[19:20], v[0:1], 0.5, v[8:9]
	v_fma_f64 v[0:1], v[0:1], 0.5, -v[8:9]
	v_fma_f64 v[10:11], -v[15:16], v[6:7], v[10:11]
	v_fma_f64 v[2:3], -v[15:16], v[6:7], v[2:3]
	v_fma_f64 v[8:9], v[4:5], v[15:16], v[19:20]
	v_fma_f64 v[0:1], -v[4:5], v[15:16], v[0:1]
                                        ; implicit-def: $vgpr4_vgpr5
.LBB0_19:
	s_andn2_saveexec_b32 s0, s5
	s_cbranch_execz .LBB0_21
; %bb.20:
	v_mov_b32_e32 v17, 0
	s_waitcnt lgkmcnt(0)
	v_add_f64 v[8:9], v[4:5], v[6:7]
	v_add_f64 v[0:1], v[4:5], -v[6:7]
	v_mov_b32_e32 v10, 0
	v_mov_b32_e32 v11, 0
	ds_read_b64 v[15:16], v17 offset:14008
	v_mov_b32_e32 v2, v10
	v_mov_b32_e32 v3, v11
	s_waitcnt lgkmcnt(0)
	v_xor_b32_e32 v16, 0x80000000, v16
	ds_write_b64 v17, v[15:16] offset:14008
.LBB0_21:
	s_or_b32 exec_lo, exec_lo, s0
	v_mov_b32_e32 v59, 0
	ds_write2_b64 v65, v[8:9], v[10:11] offset1:1
	ds_write_b128 v14, v[0:3] offset:28000
	s_waitcnt lgkmcnt(2)
	v_lshlrev_b64 v[4:5], 4, v[58:59]
	v_mov_b32_e32 v64, v59
	v_add_nc_u32_e32 v58, 0x20d, v56
	v_lshlrev_b64 v[15:16], 4, v[63:64]
	v_add_co_u32 v4, s0, s1, v4
	v_add_co_ci_u32_e64 v5, s0, s4, v5, s0
	v_lshlrev_b64 v[19:20], 4, v[58:59]
	v_add_co_u32 v15, s0, s1, v15
	global_load_dwordx4 v[4:7], v[4:5], off
	v_add_co_ci_u32_e64 v16, s0, s4, v16, s0
	v_add_co_u32 v19, s0, s1, v19
	v_add_co_ci_u32_e64 v20, s0, s4, v20, s0
	global_load_dwordx4 v[15:18], v[15:16], off
	ds_read_b128 v[0:3], v66
	ds_read_b128 v[8:11], v14 offset:25200
	v_mov_b32_e32 v63, v59
	global_load_dwordx4 v[19:22], v[19:20], off
	s_waitcnt lgkmcnt(0)
	v_add_f64 v[23:24], v[0:1], -v[8:9]
	v_add_f64 v[25:26], v[2:3], v[10:11]
	v_add_f64 v[2:3], v[2:3], -v[10:11]
	v_add_f64 v[0:1], v[0:1], v[8:9]
	v_mul_f64 v[10:11], v[23:24], 0.5
	v_mul_f64 v[23:24], v[25:26], 0.5
	;; [unrolled: 1-line block ×3, first 2 shown]
	s_waitcnt vmcnt(2)
	v_mul_f64 v[8:9], v[10:11], v[6:7]
	v_fma_f64 v[25:26], v[23:24], v[6:7], v[2:3]
	v_fma_f64 v[2:3], v[23:24], v[6:7], -v[2:3]
	v_fma_f64 v[6:7], v[0:1], 0.5, v[8:9]
	v_fma_f64 v[0:1], v[0:1], 0.5, -v[8:9]
	v_fma_f64 v[8:9], -v[4:5], v[10:11], v[25:26]
	v_fma_f64 v[2:3], -v[4:5], v[10:11], v[2:3]
	v_lshlrev_b64 v[10:11], 4, v[62:63]
	v_fma_f64 v[6:7], v[23:24], v[4:5], v[6:7]
	v_fma_f64 v[0:1], -v[23:24], v[4:5], v[0:1]
	ds_write_b64 v66, v[8:9] offset:8
	ds_write_b64 v14, v[2:3] offset:25208
	ds_write_b64 v66, v[6:7]
	ds_write_b64 v14, v[0:1] offset:25200
	v_add_co_u32 v8, s0, s1, v10
	v_add_co_ci_u32_e64 v9, s0, s4, v11, s0
	ds_read_b128 v[0:3], v13
	ds_read_b128 v[4:7], v14 offset:22400
	global_load_dwordx4 v[8:11], v[8:9], off
	s_waitcnt lgkmcnt(0)
	v_add_f64 v[23:24], v[0:1], -v[4:5]
	v_add_f64 v[25:26], v[2:3], v[6:7]
	v_add_f64 v[2:3], v[2:3], -v[6:7]
	v_add_f64 v[0:1], v[0:1], v[4:5]
	v_mul_f64 v[6:7], v[23:24], 0.5
	v_mul_f64 v[23:24], v[25:26], 0.5
	;; [unrolled: 1-line block ×3, first 2 shown]
	s_waitcnt vmcnt(2)
	v_mul_f64 v[4:5], v[6:7], v[17:18]
	v_fma_f64 v[25:26], v[23:24], v[17:18], v[2:3]
	v_fma_f64 v[2:3], v[23:24], v[17:18], -v[2:3]
	v_fma_f64 v[17:18], v[0:1], 0.5, v[4:5]
	v_fma_f64 v[0:1], v[0:1], 0.5, -v[4:5]
	v_fma_f64 v[4:5], -v[15:16], v[6:7], v[25:26]
	v_fma_f64 v[2:3], -v[15:16], v[6:7], v[2:3]
	v_fma_f64 v[6:7], v[23:24], v[15:16], v[17:18]
	v_fma_f64 v[0:1], -v[23:24], v[15:16], v[0:1]
	ds_write_b64 v13, v[4:5] offset:8
	ds_write_b64 v14, v[2:3] offset:22408
	ds_write_b64 v13, v[6:7]
	ds_write_b64 v14, v[0:1] offset:22400
	ds_read_b128 v[0:3], v65 offset:8400
	ds_read_b128 v[4:7], v14 offset:19600
	v_add_nc_u32_e32 v13, 0x2000, v65
	s_waitcnt lgkmcnt(0)
	v_add_f64 v[15:16], v[0:1], -v[4:5]
	v_add_f64 v[17:18], v[2:3], v[6:7]
	v_add_f64 v[2:3], v[2:3], -v[6:7]
	v_add_f64 v[0:1], v[0:1], v[4:5]
	v_mul_f64 v[6:7], v[15:16], 0.5
	v_mul_f64 v[15:16], v[17:18], 0.5
	;; [unrolled: 1-line block ×3, first 2 shown]
	s_waitcnt vmcnt(1)
	v_mul_f64 v[4:5], v[6:7], v[21:22]
	v_fma_f64 v[17:18], v[15:16], v[21:22], v[2:3]
	v_fma_f64 v[2:3], v[15:16], v[21:22], -v[2:3]
	v_fma_f64 v[21:22], v[0:1], 0.5, v[4:5]
	v_fma_f64 v[0:1], v[0:1], 0.5, -v[4:5]
	v_fma_f64 v[4:5], -v[19:20], v[6:7], v[17:18]
	v_fma_f64 v[2:3], -v[19:20], v[6:7], v[2:3]
	v_fma_f64 v[6:7], v[15:16], v[19:20], v[21:22]
	v_fma_f64 v[0:1], -v[15:16], v[19:20], v[0:1]
	ds_write2_b64 v13, v[6:7], v[4:5] offset0:26 offset1:27
	ds_write_b128 v14, v[0:3] offset:19600
	ds_read_b128 v[0:3], v12
	ds_read_b128 v[4:7], v14 offset:16800
	s_waitcnt lgkmcnt(0)
	v_add_f64 v[15:16], v[0:1], -v[4:5]
	v_add_f64 v[17:18], v[2:3], v[6:7]
	v_add_f64 v[2:3], v[2:3], -v[6:7]
	v_add_f64 v[0:1], v[0:1], v[4:5]
	v_mul_f64 v[6:7], v[15:16], 0.5
	v_mul_f64 v[15:16], v[17:18], 0.5
	;; [unrolled: 1-line block ×3, first 2 shown]
	s_waitcnt vmcnt(0)
	v_mul_f64 v[4:5], v[6:7], v[10:11]
	v_fma_f64 v[17:18], v[15:16], v[10:11], v[2:3]
	v_fma_f64 v[2:3], v[15:16], v[10:11], -v[2:3]
	v_fma_f64 v[10:11], v[0:1], 0.5, v[4:5]
	v_fma_f64 v[0:1], v[0:1], 0.5, -v[4:5]
	v_fma_f64 v[4:5], -v[8:9], v[6:7], v[17:18]
	v_fma_f64 v[2:3], -v[8:9], v[6:7], v[2:3]
	v_fma_f64 v[6:7], v[15:16], v[8:9], v[10:11]
	v_fma_f64 v[0:1], -v[15:16], v[8:9], v[0:1]
	ds_write_b64 v12, v[4:5] offset:8
	ds_write_b64 v14, v[2:3] offset:16808
	ds_write_b64 v12, v[6:7]
	ds_write_b64 v14, v[0:1] offset:16800
	s_waitcnt lgkmcnt(0)
	s_barrier
	buffer_gl0_inv
	s_and_saveexec_b32 s0, vcc_lo
	s_cbranch_execz .LBB0_24
; %bb.22:
	v_mov_b32_e32 v57, v59
	ds_read_b128 v[2:5], v65
	v_add_co_u32 v0, vcc_lo, s2, v60
	v_add_co_ci_u32_e32 v1, vcc_lo, s3, v61, vcc_lo
	v_lshlrev_b64 v[18:19], 4, v[56:57]
	ds_read_b128 v[6:9], v65 offset:2800
	ds_read_b128 v[10:13], v65 offset:5600
	;; [unrolled: 1-line block ×3, first 2 shown]
	v_add_co_u32 v26, vcc_lo, v0, v18
	v_add_co_ci_u32_e32 v27, vcc_lo, v1, v19, vcc_lo
	ds_read_b128 v[18:21], v65 offset:11200
	ds_read_b128 v[22:25], v65 offset:14000
	v_add_co_u32 v28, vcc_lo, 0x800, v26
	v_add_co_ci_u32_e32 v29, vcc_lo, 0, v27, vcc_lo
	s_waitcnt lgkmcnt(5)
	global_store_dwordx4 v[26:27], v[2:5], off
	v_add_co_u32 v2, vcc_lo, 0x1000, v26
	v_add_co_ci_u32_e32 v3, vcc_lo, 0, v27, vcc_lo
	v_add_co_u32 v4, vcc_lo, 0x2000, v26
	v_add_co_ci_u32_e32 v5, vcc_lo, 0, v27, vcc_lo
	;; [unrolled: 2-line block ×4, first 2 shown]
	s_waitcnt lgkmcnt(4)
	global_store_dwordx4 v[28:29], v[6:9], off offset:752
	s_waitcnt lgkmcnt(3)
	global_store_dwordx4 v[2:3], v[10:13], off offset:1504
	;; [unrolled: 2-line block ×5, first 2 shown]
	ds_read_b128 v[2:5], v65 offset:16800
	ds_read_b128 v[6:9], v65 offset:19600
	;; [unrolled: 1-line block ×4, first 2 shown]
	v_add_co_u32 v18, vcc_lo, 0x4000, v26
	v_add_co_ci_u32_e32 v19, vcc_lo, 0, v27, vcc_lo
	v_add_co_u32 v20, vcc_lo, 0x4800, v26
	v_add_co_ci_u32_e32 v21, vcc_lo, 0, v27, vcc_lo
	;; [unrolled: 2-line block ×4, first 2 shown]
	v_cmp_eq_u32_e32 vcc_lo, 0xae, v56
	s_waitcnt lgkmcnt(3)
	global_store_dwordx4 v[18:19], v[2:5], off offset:416
	s_waitcnt lgkmcnt(2)
	global_store_dwordx4 v[20:21], v[6:9], off offset:1168
	s_waitcnt lgkmcnt(1)
	global_store_dwordx4 v[22:23], v[10:13], off offset:1920
	s_waitcnt lgkmcnt(0)
	global_store_dwordx4 v[24:25], v[14:17], off offset:624
	s_and_b32 exec_lo, exec_lo, vcc_lo
	s_cbranch_execz .LBB0_24
; %bb.23:
	v_mov_b32_e32 v2, 0
	v_add_co_u32 v0, vcc_lo, 0x6800, v0
	v_add_co_ci_u32_e32 v1, vcc_lo, 0, v1, vcc_lo
	ds_read_b128 v[2:5], v2 offset:28000
	s_waitcnt lgkmcnt(0)
	global_store_dwordx4 v[0:1], v[2:5], off offset:1376
.LBB0_24:
	s_endpgm
	.section	.rodata,"a",@progbits
	.p2align	6, 0x0
	.amdhsa_kernel fft_rtc_fwd_len1750_factors_2_5_5_7_5_wgs_175_tpt_175_halfLds_dp_ip_CI_unitstride_sbrr_R2C_dirReg
		.amdhsa_group_segment_fixed_size 0
		.amdhsa_private_segment_fixed_size 0
		.amdhsa_kernarg_size 88
		.amdhsa_user_sgpr_count 6
		.amdhsa_user_sgpr_private_segment_buffer 1
		.amdhsa_user_sgpr_dispatch_ptr 0
		.amdhsa_user_sgpr_queue_ptr 0
		.amdhsa_user_sgpr_kernarg_segment_ptr 1
		.amdhsa_user_sgpr_dispatch_id 0
		.amdhsa_user_sgpr_flat_scratch_init 0
		.amdhsa_user_sgpr_private_segment_size 0
		.amdhsa_wavefront_size32 1
		.amdhsa_uses_dynamic_stack 0
		.amdhsa_system_sgpr_private_segment_wavefront_offset 0
		.amdhsa_system_sgpr_workgroup_id_x 1
		.amdhsa_system_sgpr_workgroup_id_y 0
		.amdhsa_system_sgpr_workgroup_id_z 0
		.amdhsa_system_sgpr_workgroup_info 0
		.amdhsa_system_vgpr_workitem_id 0
		.amdhsa_next_free_vgpr 111
		.amdhsa_next_free_sgpr 26
		.amdhsa_reserve_vcc 1
		.amdhsa_reserve_flat_scratch 0
		.amdhsa_float_round_mode_32 0
		.amdhsa_float_round_mode_16_64 0
		.amdhsa_float_denorm_mode_32 3
		.amdhsa_float_denorm_mode_16_64 3
		.amdhsa_dx10_clamp 1
		.amdhsa_ieee_mode 1
		.amdhsa_fp16_overflow 0
		.amdhsa_workgroup_processor_mode 1
		.amdhsa_memory_ordered 1
		.amdhsa_forward_progress 0
		.amdhsa_shared_vgpr_count 0
		.amdhsa_exception_fp_ieee_invalid_op 0
		.amdhsa_exception_fp_denorm_src 0
		.amdhsa_exception_fp_ieee_div_zero 0
		.amdhsa_exception_fp_ieee_overflow 0
		.amdhsa_exception_fp_ieee_underflow 0
		.amdhsa_exception_fp_ieee_inexact 0
		.amdhsa_exception_int_div_zero 0
	.end_amdhsa_kernel
	.text
.Lfunc_end0:
	.size	fft_rtc_fwd_len1750_factors_2_5_5_7_5_wgs_175_tpt_175_halfLds_dp_ip_CI_unitstride_sbrr_R2C_dirReg, .Lfunc_end0-fft_rtc_fwd_len1750_factors_2_5_5_7_5_wgs_175_tpt_175_halfLds_dp_ip_CI_unitstride_sbrr_R2C_dirReg
                                        ; -- End function
	.section	.AMDGPU.csdata,"",@progbits
; Kernel info:
; codeLenInByte = 10992
; NumSgprs: 28
; NumVgprs: 111
; ScratchSize: 0
; MemoryBound: 0
; FloatMode: 240
; IeeeMode: 1
; LDSByteSize: 0 bytes/workgroup (compile time only)
; SGPRBlocks: 3
; VGPRBlocks: 13
; NumSGPRsForWavesPerEU: 28
; NumVGPRsForWavesPerEU: 111
; Occupancy: 9
; WaveLimiterHint : 1
; COMPUTE_PGM_RSRC2:SCRATCH_EN: 0
; COMPUTE_PGM_RSRC2:USER_SGPR: 6
; COMPUTE_PGM_RSRC2:TRAP_HANDLER: 0
; COMPUTE_PGM_RSRC2:TGID_X_EN: 1
; COMPUTE_PGM_RSRC2:TGID_Y_EN: 0
; COMPUTE_PGM_RSRC2:TGID_Z_EN: 0
; COMPUTE_PGM_RSRC2:TIDIG_COMP_CNT: 0
	.text
	.p2alignl 6, 3214868480
	.fill 48, 4, 3214868480
	.type	__hip_cuid_1875dd505a52be03,@object ; @__hip_cuid_1875dd505a52be03
	.section	.bss,"aw",@nobits
	.globl	__hip_cuid_1875dd505a52be03
__hip_cuid_1875dd505a52be03:
	.byte	0                               ; 0x0
	.size	__hip_cuid_1875dd505a52be03, 1

	.ident	"AMD clang version 19.0.0git (https://github.com/RadeonOpenCompute/llvm-project roc-6.4.0 25133 c7fe45cf4b819c5991fe208aaa96edf142730f1d)"
	.section	".note.GNU-stack","",@progbits
	.addrsig
	.addrsig_sym __hip_cuid_1875dd505a52be03
	.amdgpu_metadata
---
amdhsa.kernels:
  - .args:
      - .actual_access:  read_only
        .address_space:  global
        .offset:         0
        .size:           8
        .value_kind:     global_buffer
      - .offset:         8
        .size:           8
        .value_kind:     by_value
      - .actual_access:  read_only
        .address_space:  global
        .offset:         16
        .size:           8
        .value_kind:     global_buffer
      - .actual_access:  read_only
        .address_space:  global
        .offset:         24
        .size:           8
        .value_kind:     global_buffer
      - .offset:         32
        .size:           8
        .value_kind:     by_value
      - .actual_access:  read_only
        .address_space:  global
        .offset:         40
        .size:           8
        .value_kind:     global_buffer
      - .actual_access:  read_only
        .address_space:  global
        .offset:         48
        .size:           8
        .value_kind:     global_buffer
      - .offset:         56
        .size:           4
        .value_kind:     by_value
      - .actual_access:  read_only
        .address_space:  global
        .offset:         64
        .size:           8
        .value_kind:     global_buffer
      - .actual_access:  read_only
        .address_space:  global
        .offset:         72
        .size:           8
        .value_kind:     global_buffer
      - .address_space:  global
        .offset:         80
        .size:           8
        .value_kind:     global_buffer
    .group_segment_fixed_size: 0
    .kernarg_segment_align: 8
    .kernarg_segment_size: 88
    .language:       OpenCL C
    .language_version:
      - 2
      - 0
    .max_flat_workgroup_size: 175
    .name:           fft_rtc_fwd_len1750_factors_2_5_5_7_5_wgs_175_tpt_175_halfLds_dp_ip_CI_unitstride_sbrr_R2C_dirReg
    .private_segment_fixed_size: 0
    .sgpr_count:     28
    .sgpr_spill_count: 0
    .symbol:         fft_rtc_fwd_len1750_factors_2_5_5_7_5_wgs_175_tpt_175_halfLds_dp_ip_CI_unitstride_sbrr_R2C_dirReg.kd
    .uniform_work_group_size: 1
    .uses_dynamic_stack: false
    .vgpr_count:     111
    .vgpr_spill_count: 0
    .wavefront_size: 32
    .workgroup_processor_mode: 1
amdhsa.target:   amdgcn-amd-amdhsa--gfx1030
amdhsa.version:
  - 1
  - 2
...

	.end_amdgpu_metadata
